;; amdgpu-corpus repo=ROCm/rocFFT kind=compiled arch=gfx1201 opt=O3
	.text
	.amdgcn_target "amdgcn-amd-amdhsa--gfx1201"
	.amdhsa_code_object_version 6
	.protected	fft_rtc_back_len1452_factors_11_3_11_4_wgs_132_tpt_132_halfLds_half_ip_CI_unitstride_sbrr_C2R_dirReg ; -- Begin function fft_rtc_back_len1452_factors_11_3_11_4_wgs_132_tpt_132_halfLds_half_ip_CI_unitstride_sbrr_C2R_dirReg
	.globl	fft_rtc_back_len1452_factors_11_3_11_4_wgs_132_tpt_132_halfLds_half_ip_CI_unitstride_sbrr_C2R_dirReg
	.p2align	8
	.type	fft_rtc_back_len1452_factors_11_3_11_4_wgs_132_tpt_132_halfLds_half_ip_CI_unitstride_sbrr_C2R_dirReg,@function
fft_rtc_back_len1452_factors_11_3_11_4_wgs_132_tpt_132_halfLds_half_ip_CI_unitstride_sbrr_C2R_dirReg: ; @fft_rtc_back_len1452_factors_11_3_11_4_wgs_132_tpt_132_halfLds_half_ip_CI_unitstride_sbrr_C2R_dirReg
; %bb.0:
	s_clause 0x2
	s_load_b128 s[4:7], s[0:1], 0x0
	s_load_b64 s[8:9], s[0:1], 0x50
	s_load_b64 s[10:11], s[0:1], 0x18
	v_mul_u32_u24_e32 v1, 0x1f1, v0
	v_mov_b32_e32 v3, 0
	s_delay_alu instid0(VALU_DEP_2) | instskip(NEXT) | instid1(VALU_DEP_1)
	v_lshrrev_b32_e32 v1, 16, v1
	v_add_nc_u32_e32 v5, ttmp9, v1
	v_mov_b32_e32 v1, 0
	v_mov_b32_e32 v2, 0
	;; [unrolled: 1-line block ×3, first 2 shown]
	s_wait_kmcnt 0x0
	v_cmp_lt_u64_e64 s2, s[6:7], 2
	s_delay_alu instid0(VALU_DEP_1)
	s_and_b32 vcc_lo, exec_lo, s2
	s_cbranch_vccnz .LBB0_8
; %bb.1:
	s_load_b64 s[2:3], s[0:1], 0x10
	v_mov_b32_e32 v1, 0
	v_mov_b32_e32 v2, 0
	s_add_nc_u64 s[12:13], s[10:11], 8
	s_mov_b64 s[14:15], 1
	s_wait_kmcnt 0x0
	s_add_nc_u64 s[16:17], s[2:3], 8
	s_mov_b32 s3, 0
.LBB0_2:                                ; =>This Inner Loop Header: Depth=1
	s_load_b64 s[18:19], s[16:17], 0x0
                                        ; implicit-def: $vgpr7_vgpr8
	s_mov_b32 s2, exec_lo
	s_wait_kmcnt 0x0
	v_or_b32_e32 v4, s19, v6
	s_delay_alu instid0(VALU_DEP_1)
	v_cmpx_ne_u64_e32 0, v[3:4]
	s_wait_alu 0xfffe
	s_xor_b32 s20, exec_lo, s2
	s_cbranch_execz .LBB0_4
; %bb.3:                                ;   in Loop: Header=BB0_2 Depth=1
	s_cvt_f32_u32 s2, s18
	s_cvt_f32_u32 s21, s19
	s_sub_nc_u64 s[24:25], 0, s[18:19]
	s_wait_alu 0xfffe
	s_delay_alu instid0(SALU_CYCLE_1) | instskip(SKIP_1) | instid1(SALU_CYCLE_2)
	s_fmamk_f32 s2, s21, 0x4f800000, s2
	s_wait_alu 0xfffe
	v_s_rcp_f32 s2, s2
	s_delay_alu instid0(TRANS32_DEP_1) | instskip(SKIP_1) | instid1(SALU_CYCLE_2)
	s_mul_f32 s2, s2, 0x5f7ffffc
	s_wait_alu 0xfffe
	s_mul_f32 s21, s2, 0x2f800000
	s_wait_alu 0xfffe
	s_delay_alu instid0(SALU_CYCLE_2) | instskip(SKIP_1) | instid1(SALU_CYCLE_2)
	s_trunc_f32 s21, s21
	s_wait_alu 0xfffe
	s_fmamk_f32 s2, s21, 0xcf800000, s2
	s_cvt_u32_f32 s23, s21
	s_wait_alu 0xfffe
	s_delay_alu instid0(SALU_CYCLE_1) | instskip(SKIP_1) | instid1(SALU_CYCLE_2)
	s_cvt_u32_f32 s22, s2
	s_wait_alu 0xfffe
	s_mul_u64 s[26:27], s[24:25], s[22:23]
	s_wait_alu 0xfffe
	s_mul_hi_u32 s29, s22, s27
	s_mul_i32 s28, s22, s27
	s_mul_hi_u32 s2, s22, s26
	s_mul_i32 s30, s23, s26
	s_wait_alu 0xfffe
	s_add_nc_u64 s[28:29], s[2:3], s[28:29]
	s_mul_hi_u32 s21, s23, s26
	s_mul_hi_u32 s31, s23, s27
	s_add_co_u32 s2, s28, s30
	s_wait_alu 0xfffe
	s_add_co_ci_u32 s2, s29, s21
	s_mul_i32 s26, s23, s27
	s_add_co_ci_u32 s27, s31, 0
	s_wait_alu 0xfffe
	s_add_nc_u64 s[26:27], s[2:3], s[26:27]
	s_wait_alu 0xfffe
	v_add_co_u32 v4, s2, s22, s26
	s_delay_alu instid0(VALU_DEP_1) | instskip(SKIP_1) | instid1(VALU_DEP_1)
	s_cmp_lg_u32 s2, 0
	s_add_co_ci_u32 s23, s23, s27
	v_readfirstlane_b32 s22, v4
	s_wait_alu 0xfffe
	s_delay_alu instid0(VALU_DEP_1)
	s_mul_u64 s[24:25], s[24:25], s[22:23]
	s_wait_alu 0xfffe
	s_mul_hi_u32 s27, s22, s25
	s_mul_i32 s26, s22, s25
	s_mul_hi_u32 s2, s22, s24
	s_mul_i32 s28, s23, s24
	s_wait_alu 0xfffe
	s_add_nc_u64 s[26:27], s[2:3], s[26:27]
	s_mul_hi_u32 s21, s23, s24
	s_mul_hi_u32 s22, s23, s25
	s_wait_alu 0xfffe
	s_add_co_u32 s2, s26, s28
	s_add_co_ci_u32 s2, s27, s21
	s_mul_i32 s24, s23, s25
	s_add_co_ci_u32 s25, s22, 0
	s_wait_alu 0xfffe
	s_add_nc_u64 s[24:25], s[2:3], s[24:25]
	s_wait_alu 0xfffe
	v_add_co_u32 v4, s2, v4, s24
	s_delay_alu instid0(VALU_DEP_1) | instskip(SKIP_1) | instid1(VALU_DEP_1)
	s_cmp_lg_u32 s2, 0
	s_add_co_ci_u32 s2, s23, s25
	v_mul_hi_u32 v13, v5, v4
	s_wait_alu 0xfffe
	v_mad_co_u64_u32 v[7:8], null, v5, s2, 0
	v_mad_co_u64_u32 v[9:10], null, v6, v4, 0
	;; [unrolled: 1-line block ×3, first 2 shown]
	s_delay_alu instid0(VALU_DEP_3) | instskip(SKIP_1) | instid1(VALU_DEP_4)
	v_add_co_u32 v4, vcc_lo, v13, v7
	s_wait_alu 0xfffd
	v_add_co_ci_u32_e32 v7, vcc_lo, 0, v8, vcc_lo
	s_delay_alu instid0(VALU_DEP_2) | instskip(SKIP_1) | instid1(VALU_DEP_2)
	v_add_co_u32 v4, vcc_lo, v4, v9
	s_wait_alu 0xfffd
	v_add_co_ci_u32_e32 v4, vcc_lo, v7, v10, vcc_lo
	s_wait_alu 0xfffd
	v_add_co_ci_u32_e32 v7, vcc_lo, 0, v12, vcc_lo
	s_delay_alu instid0(VALU_DEP_2) | instskip(SKIP_1) | instid1(VALU_DEP_2)
	v_add_co_u32 v4, vcc_lo, v4, v11
	s_wait_alu 0xfffd
	v_add_co_ci_u32_e32 v9, vcc_lo, 0, v7, vcc_lo
	s_delay_alu instid0(VALU_DEP_2) | instskip(SKIP_1) | instid1(VALU_DEP_3)
	v_mul_lo_u32 v10, s19, v4
	v_mad_co_u64_u32 v[7:8], null, s18, v4, 0
	v_mul_lo_u32 v11, s18, v9
	s_delay_alu instid0(VALU_DEP_2) | instskip(NEXT) | instid1(VALU_DEP_2)
	v_sub_co_u32 v7, vcc_lo, v5, v7
	v_add3_u32 v8, v8, v11, v10
	s_delay_alu instid0(VALU_DEP_1) | instskip(SKIP_1) | instid1(VALU_DEP_1)
	v_sub_nc_u32_e32 v10, v6, v8
	s_wait_alu 0xfffd
	v_subrev_co_ci_u32_e64 v10, s2, s19, v10, vcc_lo
	v_add_co_u32 v11, s2, v4, 2
	s_wait_alu 0xf1ff
	v_add_co_ci_u32_e64 v12, s2, 0, v9, s2
	v_sub_co_u32 v13, s2, v7, s18
	v_sub_co_ci_u32_e32 v8, vcc_lo, v6, v8, vcc_lo
	s_wait_alu 0xf1ff
	v_subrev_co_ci_u32_e64 v10, s2, 0, v10, s2
	s_delay_alu instid0(VALU_DEP_3) | instskip(NEXT) | instid1(VALU_DEP_3)
	v_cmp_le_u32_e32 vcc_lo, s18, v13
	v_cmp_eq_u32_e64 s2, s19, v8
	s_wait_alu 0xfffd
	v_cndmask_b32_e64 v13, 0, -1, vcc_lo
	v_cmp_le_u32_e32 vcc_lo, s19, v10
	s_wait_alu 0xfffd
	v_cndmask_b32_e64 v14, 0, -1, vcc_lo
	v_cmp_le_u32_e32 vcc_lo, s18, v7
	;; [unrolled: 3-line block ×3, first 2 shown]
	s_wait_alu 0xfffd
	v_cndmask_b32_e64 v15, 0, -1, vcc_lo
	v_cmp_eq_u32_e32 vcc_lo, s19, v10
	s_wait_alu 0xf1ff
	s_delay_alu instid0(VALU_DEP_2)
	v_cndmask_b32_e64 v7, v15, v7, s2
	s_wait_alu 0xfffd
	v_cndmask_b32_e32 v10, v14, v13, vcc_lo
	v_add_co_u32 v13, vcc_lo, v4, 1
	s_wait_alu 0xfffd
	v_add_co_ci_u32_e32 v14, vcc_lo, 0, v9, vcc_lo
	s_delay_alu instid0(VALU_DEP_3) | instskip(SKIP_2) | instid1(VALU_DEP_3)
	v_cmp_ne_u32_e32 vcc_lo, 0, v10
	s_wait_alu 0xfffd
	v_cndmask_b32_e32 v10, v13, v11, vcc_lo
	v_cndmask_b32_e32 v8, v14, v12, vcc_lo
	v_cmp_ne_u32_e32 vcc_lo, 0, v7
	s_wait_alu 0xfffd
	s_delay_alu instid0(VALU_DEP_2)
	v_dual_cndmask_b32 v7, v4, v10 :: v_dual_cndmask_b32 v8, v9, v8
.LBB0_4:                                ;   in Loop: Header=BB0_2 Depth=1
	s_wait_alu 0xfffe
	s_and_not1_saveexec_b32 s2, s20
	s_cbranch_execz .LBB0_6
; %bb.5:                                ;   in Loop: Header=BB0_2 Depth=1
	v_cvt_f32_u32_e32 v4, s18
	s_sub_co_i32 s20, 0, s18
	s_delay_alu instid0(VALU_DEP_1) | instskip(NEXT) | instid1(TRANS32_DEP_1)
	v_rcp_iflag_f32_e32 v4, v4
	v_mul_f32_e32 v4, 0x4f7ffffe, v4
	s_delay_alu instid0(VALU_DEP_1) | instskip(SKIP_1) | instid1(VALU_DEP_1)
	v_cvt_u32_f32_e32 v4, v4
	s_wait_alu 0xfffe
	v_mul_lo_u32 v7, s20, v4
	s_delay_alu instid0(VALU_DEP_1) | instskip(NEXT) | instid1(VALU_DEP_1)
	v_mul_hi_u32 v7, v4, v7
	v_add_nc_u32_e32 v4, v4, v7
	s_delay_alu instid0(VALU_DEP_1) | instskip(NEXT) | instid1(VALU_DEP_1)
	v_mul_hi_u32 v4, v5, v4
	v_mul_lo_u32 v7, v4, s18
	v_add_nc_u32_e32 v8, 1, v4
	s_delay_alu instid0(VALU_DEP_2) | instskip(NEXT) | instid1(VALU_DEP_1)
	v_sub_nc_u32_e32 v7, v5, v7
	v_subrev_nc_u32_e32 v9, s18, v7
	v_cmp_le_u32_e32 vcc_lo, s18, v7
	s_wait_alu 0xfffd
	s_delay_alu instid0(VALU_DEP_2) | instskip(NEXT) | instid1(VALU_DEP_1)
	v_dual_cndmask_b32 v7, v7, v9 :: v_dual_cndmask_b32 v4, v4, v8
	v_cmp_le_u32_e32 vcc_lo, s18, v7
	s_delay_alu instid0(VALU_DEP_2) | instskip(SKIP_1) | instid1(VALU_DEP_1)
	v_add_nc_u32_e32 v8, 1, v4
	s_wait_alu 0xfffd
	v_dual_cndmask_b32 v7, v4, v8 :: v_dual_mov_b32 v8, v3
.LBB0_6:                                ;   in Loop: Header=BB0_2 Depth=1
	s_wait_alu 0xfffe
	s_or_b32 exec_lo, exec_lo, s2
	s_load_b64 s[20:21], s[12:13], 0x0
	s_delay_alu instid0(VALU_DEP_1)
	v_mul_lo_u32 v4, v8, s18
	v_mul_lo_u32 v11, v7, s19
	v_mad_co_u64_u32 v[9:10], null, v7, s18, 0
	s_add_nc_u64 s[14:15], s[14:15], 1
	s_add_nc_u64 s[12:13], s[12:13], 8
	s_wait_alu 0xfffe
	v_cmp_ge_u64_e64 s2, s[14:15], s[6:7]
	s_add_nc_u64 s[16:17], s[16:17], 8
	s_delay_alu instid0(VALU_DEP_2) | instskip(NEXT) | instid1(VALU_DEP_3)
	v_add3_u32 v4, v10, v11, v4
	v_sub_co_u32 v5, vcc_lo, v5, v9
	s_wait_alu 0xfffd
	s_delay_alu instid0(VALU_DEP_2) | instskip(SKIP_3) | instid1(VALU_DEP_2)
	v_sub_co_ci_u32_e32 v4, vcc_lo, v6, v4, vcc_lo
	s_and_b32 vcc_lo, exec_lo, s2
	s_wait_kmcnt 0x0
	v_mul_lo_u32 v6, s21, v5
	v_mul_lo_u32 v4, s20, v4
	v_mad_co_u64_u32 v[1:2], null, s20, v5, v[1:2]
	s_delay_alu instid0(VALU_DEP_1)
	v_add3_u32 v2, v6, v2, v4
	s_wait_alu 0xfffe
	s_cbranch_vccnz .LBB0_9
; %bb.7:                                ;   in Loop: Header=BB0_2 Depth=1
	v_dual_mov_b32 v5, v7 :: v_dual_mov_b32 v6, v8
	s_branch .LBB0_2
.LBB0_8:
	v_dual_mov_b32 v8, v6 :: v_dual_mov_b32 v7, v5
.LBB0_9:
	s_lshl_b64 s[2:3], s[6:7], 3
	v_mul_hi_u32 v5, 0x1f07c20, v0
	s_wait_alu 0xfffe
	s_add_nc_u64 s[2:3], s[10:11], s[2:3]
	s_load_b64 s[2:3], s[2:3], 0x0
	s_load_b64 s[0:1], s[0:1], 0x20
	s_wait_kmcnt 0x0
	v_mul_lo_u32 v3, s2, v8
	v_mul_lo_u32 v4, s3, v7
	v_mad_co_u64_u32 v[1:2], null, s2, v7, v[1:2]
	v_cmp_gt_u64_e32 vcc_lo, s[0:1], v[7:8]
	s_delay_alu instid0(VALU_DEP_2) | instskip(SKIP_1) | instid1(VALU_DEP_2)
	v_add3_u32 v2, v4, v2, v3
	v_mul_u32_u24_e32 v3, 0x84, v5
	v_lshlrev_b64_e32 v[10:11], 2, v[1:2]
	s_delay_alu instid0(VALU_DEP_2)
	v_sub_nc_u32_e32 v8, v0, v3
	s_and_saveexec_b32 s1, vcc_lo
	s_cbranch_execz .LBB0_13
; %bb.10:
	v_mov_b32_e32 v9, 0
	s_delay_alu instid0(VALU_DEP_3) | instskip(SKIP_2) | instid1(VALU_DEP_3)
	v_add_co_u32 v0, s0, s8, v10
	s_wait_alu 0xf1ff
	v_add_co_ci_u32_e64 v1, s0, s9, v11, s0
	v_lshlrev_b64_e32 v[2:3], 2, v[8:9]
	s_mov_b32 s2, exec_lo
	s_delay_alu instid0(VALU_DEP_1) | instskip(SKIP_1) | instid1(VALU_DEP_2)
	v_add_co_u32 v2, s0, v0, v2
	s_wait_alu 0xf1ff
	v_add_co_ci_u32_e64 v3, s0, v1, v3, s0
	s_clause 0xa
	global_load_b32 v4, v[2:3], off
	global_load_b32 v5, v[2:3], off offset:528
	global_load_b32 v6, v[2:3], off offset:1056
	;; [unrolled: 1-line block ×10, first 2 shown]
	v_lshl_add_u32 v3, v8, 2, 0
	s_delay_alu instid0(VALU_DEP_1)
	v_add_nc_u32_e32 v18, 0x400, v3
	v_add_nc_u32_e32 v19, 0x800, v3
	v_add_nc_u32_e32 v20, 0xc00, v3
	v_add_nc_u32_e32 v21, 0x1000, v3
	s_wait_loadcnt 0x9
	ds_store_2addr_b32 v3, v4, v5 offset1:132
	s_wait_loadcnt 0x7
	ds_store_2addr_b32 v18, v6, v7 offset0:8 offset1:140
	s_wait_loadcnt 0x5
	ds_store_2addr_b32 v19, v12, v13 offset0:16 offset1:148
	;; [unrolled: 2-line block ×4, first 2 shown]
	s_wait_loadcnt 0x0
	ds_store_b32 v3, v2 offset:5280
	v_cmpx_eq_u32_e32 0x83, v8
	s_cbranch_execz .LBB0_12
; %bb.11:
	global_load_b32 v0, v[0:1], off offset:5808
	v_mov_b32_e32 v8, 0x83
	s_wait_loadcnt 0x0
	ds_store_b32 v9, v0 offset:5808
.LBB0_12:
	s_wait_alu 0xfffe
	s_or_b32 exec_lo, exec_lo, s2
.LBB0_13:
	s_wait_alu 0xfffe
	s_or_b32 exec_lo, exec_lo, s1
	v_lshlrev_b32_e32 v0, 2, v8
	global_wb scope:SCOPE_SE
	s_wait_dscnt 0x0
	s_barrier_signal -1
	s_barrier_wait -1
	global_inv scope:SCOPE_SE
	v_add_nc_u32_e32 v24, 0, v0
	v_sub_nc_u32_e32 v2, 0, v0
	s_mov_b32 s1, exec_lo
                                        ; implicit-def: $vgpr0_vgpr1
	ds_load_u16 v5, v24
	ds_load_u16 v6, v2 offset:5808
	s_wait_dscnt 0x0
	v_add_f16_e32 v4, v6, v5
	v_sub_f16_e32 v3, v5, v6
	v_cmpx_ne_u32_e32 0, v8
	s_wait_alu 0xfffe
	s_xor_b32 s1, exec_lo, s1
	s_cbranch_execz .LBB0_15
; %bb.14:
	v_mov_b32_e32 v9, 0
	v_add_f16_e32 v4, v6, v5
	v_sub_f16_e32 v5, v5, v6
	s_delay_alu instid0(VALU_DEP_3) | instskip(NEXT) | instid1(VALU_DEP_1)
	v_lshlrev_b64_e32 v[0:1], 2, v[8:9]
	v_add_co_u32 v0, s0, s4, v0
	s_wait_alu 0xf1ff
	s_delay_alu instid0(VALU_DEP_2)
	v_add_co_ci_u32_e64 v1, s0, s5, v1, s0
	global_load_b32 v0, v[0:1], off offset:5764
	ds_load_u16 v1, v2 offset:5810
	ds_load_u16 v3, v24 offset:2
	s_wait_dscnt 0x0
	v_add_f16_e32 v6, v1, v3
	v_sub_f16_e32 v1, v3, v1
	s_wait_loadcnt 0x0
	v_lshrrev_b32_e32 v7, 16, v0
	s_delay_alu instid0(VALU_DEP_1) | instskip(NEXT) | instid1(VALU_DEP_3)
	v_fma_f16 v12, -v5, v7, v4
	v_fma_f16 v13, v6, v7, -v1
	v_fma_f16 v3, v6, v7, v1
	v_fma_f16 v4, v5, v7, v4
	s_delay_alu instid0(VALU_DEP_4) | instskip(NEXT) | instid1(VALU_DEP_4)
	v_fmac_f16_e32 v12, v0, v6
	v_fmac_f16_e32 v13, v5, v0
	s_delay_alu instid0(VALU_DEP_4) | instskip(NEXT) | instid1(VALU_DEP_4)
	v_fmac_f16_e32 v3, v5, v0
	v_fma_f16 v4, -v0, v6, v4
	v_dual_mov_b32 v0, v8 :: v_dual_mov_b32 v1, v9
	s_delay_alu instid0(VALU_DEP_4)
	v_pack_b32_f16 v5, v12, v13
	ds_store_b32 v2, v5 offset:5808
.LBB0_15:
	s_wait_alu 0xfffe
	s_and_not1_saveexec_b32 s0, s1
	s_cbranch_execz .LBB0_17
; %bb.16:
	v_mov_b32_e32 v5, 0
	ds_load_b32 v0, v5 offset:2904
	s_wait_dscnt 0x0
	v_pk_mul_f16 v6, 0xc0004000, v0
	v_mov_b32_e32 v0, 0
	v_mov_b32_e32 v1, 0
	ds_store_b32 v5, v6 offset:2904
.LBB0_17:
	s_wait_alu 0xfffe
	s_or_b32 exec_lo, exec_lo, s0
	v_lshlrev_b64_e32 v[0:1], 2, v[0:1]
	s_add_nc_u64 s[0:1], s[4:5], 0x1684
	v_perm_b32 v3, v3, v4, 0x5040100
	s_wait_alu 0xfffe
	s_delay_alu instid0(VALU_DEP_2)
	v_add_co_u32 v0, s0, s0, v0
	s_wait_alu 0xf1ff
	v_add_co_ci_u32_e64 v1, s0, s1, v1, s0
	s_mov_b32 s1, exec_lo
	s_clause 0x3
	global_load_b32 v5, v[0:1], off offset:528
	global_load_b32 v6, v[0:1], off offset:1056
	;; [unrolled: 1-line block ×4, first 2 shown]
	ds_store_b32 v24, v3
	ds_load_b32 v3, v24 offset:528
	ds_load_b32 v4, v2 offset:5280
	s_wait_dscnt 0x1
	v_lshrrev_b32_e32 v12, 16, v3
	s_wait_dscnt 0x0
	v_lshrrev_b32_e32 v13, 16, v4
	v_add_f16_e32 v14, v3, v4
	v_sub_f16_e32 v3, v3, v4
	s_delay_alu instid0(VALU_DEP_3) | instskip(SKIP_3) | instid1(VALU_DEP_1)
	v_add_f16_e32 v4, v13, v12
	v_sub_f16_e32 v12, v12, v13
	s_wait_loadcnt 0x3
	v_lshrrev_b32_e32 v15, 16, v5
	v_fma_f16 v13, v3, v15, v14
	s_delay_alu instid0(VALU_DEP_3) | instskip(SKIP_2) | instid1(VALU_DEP_4)
	v_fma_f16 v16, v4, v15, v12
	v_fma_f16 v14, -v3, v15, v14
	v_fma_f16 v12, v4, v15, -v12
	v_fma_f16 v13, -v5, v4, v13
	s_delay_alu instid0(VALU_DEP_4) | instskip(NEXT) | instid1(VALU_DEP_4)
	v_fmac_f16_e32 v16, v3, v5
	v_fmac_f16_e32 v14, v5, v4
	s_delay_alu instid0(VALU_DEP_4) | instskip(NEXT) | instid1(VALU_DEP_3)
	v_fmac_f16_e32 v12, v3, v5
	v_pack_b32_f16 v3, v13, v16
	s_wait_loadcnt 0x2
	v_lshrrev_b32_e32 v13, 16, v6
	s_delay_alu instid0(VALU_DEP_3)
	v_pack_b32_f16 v4, v14, v12
	ds_store_b32 v24, v3 offset:528
	ds_store_b32 v2, v4 offset:5280
	ds_load_b32 v3, v24 offset:1056
	ds_load_b32 v4, v2 offset:4752
	s_wait_dscnt 0x1
	v_lshrrev_b32_e32 v5, 16, v3
	s_wait_dscnt 0x0
	v_lshrrev_b32_e32 v12, 16, v4
	v_add_f16_e32 v14, v3, v4
	v_sub_f16_e32 v3, v3, v4
	s_delay_alu instid0(VALU_DEP_3) | instskip(SKIP_1) | instid1(VALU_DEP_3)
	v_add_f16_e32 v4, v12, v5
	v_sub_f16_e32 v5, v5, v12
	v_fma_f16 v12, v3, v13, v14
	v_fma_f16 v14, -v3, v13, v14
	s_delay_alu instid0(VALU_DEP_3) | instskip(SKIP_1) | instid1(VALU_DEP_4)
	v_fma_f16 v15, v4, v13, v5
	v_fma_f16 v5, v4, v13, -v5
	v_fma_f16 v12, -v6, v4, v12
	s_delay_alu instid0(VALU_DEP_4) | instskip(NEXT) | instid1(VALU_DEP_4)
	v_fmac_f16_e32 v14, v6, v4
	v_fmac_f16_e32 v15, v3, v6
	s_delay_alu instid0(VALU_DEP_4) | instskip(NEXT) | instid1(VALU_DEP_2)
	v_fmac_f16_e32 v5, v3, v6
	v_pack_b32_f16 v3, v12, v15
	s_delay_alu instid0(VALU_DEP_2)
	v_pack_b32_f16 v4, v14, v5
	ds_store_b32 v24, v3 offset:1056
	ds_store_b32 v2, v4 offset:4752
	ds_load_b32 v3, v24 offset:1584
	ds_load_b32 v4, v2 offset:4224
	s_wait_loadcnt 0x1
	v_lshrrev_b32_e32 v12, 16, v7
	s_wait_dscnt 0x1
	v_lshrrev_b32_e32 v5, 16, v3
	s_wait_dscnt 0x0
	v_lshrrev_b32_e32 v6, 16, v4
	v_add_f16_e32 v13, v3, v4
	v_sub_f16_e32 v3, v3, v4
	s_delay_alu instid0(VALU_DEP_3) | instskip(SKIP_1) | instid1(VALU_DEP_3)
	v_add_f16_e32 v4, v6, v5
	v_sub_f16_e32 v5, v5, v6
	v_fma_f16 v6, v3, v12, v13
	v_fma_f16 v13, -v3, v12, v13
	s_delay_alu instid0(VALU_DEP_3) | instskip(SKIP_1) | instid1(VALU_DEP_4)
	v_fma_f16 v14, v4, v12, v5
	v_fma_f16 v5, v4, v12, -v5
	v_fma_f16 v6, -v7, v4, v6
	s_delay_alu instid0(VALU_DEP_4) | instskip(NEXT) | instid1(VALU_DEP_4)
	v_fmac_f16_e32 v13, v7, v4
	v_fmac_f16_e32 v14, v3, v7
	s_delay_alu instid0(VALU_DEP_4) | instskip(SKIP_2) | instid1(VALU_DEP_3)
	v_fmac_f16_e32 v5, v3, v7
	s_wait_loadcnt 0x0
	v_lshrrev_b32_e32 v7, 16, v9
	v_pack_b32_f16 v3, v6, v14
	s_delay_alu instid0(VALU_DEP_3)
	v_pack_b32_f16 v4, v13, v5
	ds_store_b32 v24, v3 offset:1584
	ds_store_b32 v2, v4 offset:4224
	ds_load_b32 v3, v24 offset:2112
	ds_load_b32 v4, v2 offset:3696
	s_wait_dscnt 0x1
	v_lshrrev_b32_e32 v5, 16, v3
	s_wait_dscnt 0x0
	v_lshrrev_b32_e32 v6, 16, v4
	v_add_f16_e32 v12, v3, v4
	v_sub_f16_e32 v3, v3, v4
	s_delay_alu instid0(VALU_DEP_3) | instskip(SKIP_1) | instid1(VALU_DEP_3)
	v_add_f16_e32 v4, v6, v5
	v_sub_f16_e32 v5, v5, v6
	v_fma_f16 v6, v3, v7, v12
	v_fma_f16 v12, -v3, v7, v12
	s_delay_alu instid0(VALU_DEP_3) | instskip(SKIP_1) | instid1(VALU_DEP_4)
	v_fma_f16 v13, v4, v7, v5
	v_fma_f16 v5, v4, v7, -v5
	v_fma_f16 v6, -v9, v4, v6
	s_delay_alu instid0(VALU_DEP_4) | instskip(NEXT) | instid1(VALU_DEP_4)
	v_fmac_f16_e32 v12, v9, v4
	v_fmac_f16_e32 v13, v3, v9
	s_delay_alu instid0(VALU_DEP_4) | instskip(NEXT) | instid1(VALU_DEP_2)
	v_fmac_f16_e32 v5, v3, v9
	v_pack_b32_f16 v3, v6, v13
	s_delay_alu instid0(VALU_DEP_2)
	v_pack_b32_f16 v4, v12, v5
	ds_store_b32 v24, v3 offset:2112
	ds_store_b32 v2, v4 offset:3696
	v_cmpx_gt_u32_e32 0x42, v8
	s_cbranch_execz .LBB0_19
; %bb.18:
	global_load_b32 v0, v[0:1], off offset:2640
	ds_load_b32 v1, v24 offset:2640
	ds_load_b32 v3, v2 offset:3168
	s_wait_dscnt 0x1
	v_lshrrev_b32_e32 v4, 16, v1
	s_wait_dscnt 0x0
	v_lshrrev_b32_e32 v5, 16, v3
	v_add_f16_e32 v6, v1, v3
	v_sub_f16_e32 v1, v1, v3
	s_delay_alu instid0(VALU_DEP_3) | instskip(SKIP_3) | instid1(VALU_DEP_1)
	v_add_f16_e32 v3, v5, v4
	v_sub_f16_e32 v4, v4, v5
	s_wait_loadcnt 0x0
	v_lshrrev_b32_e32 v7, 16, v0
	v_fma_f16 v5, v1, v7, v6
	s_delay_alu instid0(VALU_DEP_3) | instskip(SKIP_2) | instid1(VALU_DEP_4)
	v_fma_f16 v9, v3, v7, v4
	v_fma_f16 v6, -v1, v7, v6
	v_fma_f16 v4, v3, v7, -v4
	v_fma_f16 v5, -v0, v3, v5
	s_delay_alu instid0(VALU_DEP_4) | instskip(NEXT) | instid1(VALU_DEP_4)
	v_fmac_f16_e32 v9, v1, v0
	v_fmac_f16_e32 v6, v0, v3
	s_delay_alu instid0(VALU_DEP_4) | instskip(NEXT) | instid1(VALU_DEP_3)
	v_fmac_f16_e32 v4, v1, v0
	v_pack_b32_f16 v0, v5, v9
	s_delay_alu instid0(VALU_DEP_2)
	v_pack_b32_f16 v1, v6, v4
	ds_store_b32 v24, v0 offset:2640
	ds_store_b32 v2, v1 offset:3168
.LBB0_19:
	s_wait_alu 0xfffe
	s_or_b32 exec_lo, exec_lo, s1
	global_wb scope:SCOPE_SE
	s_wait_dscnt 0x0
	s_barrier_signal -1
	s_barrier_wait -1
	global_inv scope:SCOPE_SE
	global_wb scope:SCOPE_SE
	s_barrier_signal -1
	s_barrier_wait -1
	global_inv scope:SCOPE_SE
	ds_load_2addr_b32 v[0:1], v24 offset1:132
	v_add_nc_u32_e32 v9, 0x400, v24
	ds_load_b32 v14, v24 offset:5280
	ds_load_2addr_b32 v[2:3], v9 offset0:8 offset1:140
	v_add_nc_u32_e32 v16, 0x800, v24
	v_add_nc_u32_e32 v12, 0xc00, v24
	;; [unrolled: 1-line block ×3, first 2 shown]
	v_mad_u32_u24 v17, v8, 40, v24
	ds_load_2addr_b32 v[6:7], v16 offset0:16 offset1:148
	ds_load_2addr_b32 v[12:13], v12 offset0:24 offset1:156
	;; [unrolled: 1-line block ×3, first 2 shown]
	global_wb scope:SCOPE_SE
	s_wait_dscnt 0x0
	s_barrier_signal -1
	s_barrier_wait -1
	global_inv scope:SCOPE_SE
	v_pk_add_f16 v15, v0, v1
	v_lshrrev_b32_e32 v19, 16, v0
	v_pk_add_f16 v18, v1, v14 neg_lo:[0,1] neg_hi:[0,1]
	s_delay_alu instid0(VALU_DEP_3) | instskip(SKIP_1) | instid1(VALU_DEP_3)
	v_pk_add_f16 v15, v15, v2
	v_pk_add_f16 v1, v14, v1
	v_pk_mul_f16 v20, 0xb853, v18 op_sel_hi:[0,1]
	s_delay_alu instid0(VALU_DEP_3) | instskip(SKIP_1) | instid1(VALU_DEP_4)
	v_pk_add_f16 v15, v15, v3
	v_lshrrev_b32_e32 v21, 16, v18
	v_lshrrev_b32_e32 v22, 16, v1
	v_pk_add_f16 v23, v2, v5 neg_lo:[0,1] neg_hi:[0,1]
	v_pk_fma_f16 v25, 0x3abb, v1, v20 op_sel:[0,0,1] op_sel_hi:[0,1,0]
	v_pk_add_f16 v15, v15, v6
	v_pk_fma_f16 v20, 0x3abb, v1, v20 op_sel:[0,0,1] op_sel_hi:[0,1,0] neg_lo:[0,0,1] neg_hi:[0,0,1]
	v_mul_f16_e32 v26, 0xbb47, v21
	v_pk_add_f16 v2, v5, v2
	v_lshrrev_b32_e32 v36, 16, v23
	v_pk_add_f16 v15, v15, v7
	v_mul_f16_e32 v27, 0x36a6, v22
	v_mul_f16_e32 v29, 0xb08e, v22
	;; [unrolled: 1-line block ×3, first 2 shown]
	v_bfi_b32 v30, 0xffff, v25, v20
	v_pk_add_f16 v15, v15, v12
	v_fmamk_f16 v31, v1, 0x36a6, v26
	v_mul_f16_e32 v38, 0xba0c, v36
	v_lshrrev_b32_e32 v39, 16, v2
	v_mul_f16_e32 v28, 0xbbeb, v21
	v_pk_add_f16 v15, v15, v13
	v_fmamk_f16 v32, v18, 0x3b47, v27
	v_fma_f16 v26, v1, 0x36a6, -v26
	v_fmac_f16_e32 v27, 0xbb47, v18
	v_fmamk_f16 v34, v18, 0x3beb, v29
	v_pk_add_f16 v15, v15, v4
	v_fmac_f16_e32 v29, 0xbbeb, v18
	v_pk_add_f16 v30, v0, v30
	v_add_f16_e32 v31, v0, v31
	v_fmamk_f16 v41, v2, 0xb93d, v38
	v_pk_add_f16 v15, v15, v5
	v_pk_mul_f16 v5, 0xbb47, v23 op_sel_hi:[0,1]
	v_mul_f16_e32 v42, 0xb93d, v39
	v_fmamk_f16 v33, v1, 0xb08e, v28
	v_fma_f16 v28, v1, 0xb08e, -v28
	v_pk_add_f16 v14, v15, v14
	v_pk_fma_f16 v37, 0x36a6, v2, v5 op_sel:[0,0,1] op_sel_hi:[0,1,0]
	v_pk_fma_f16 v5, 0x36a6, v2, v5 op_sel:[0,0,1] op_sel_hi:[0,1,0] neg_lo:[0,0,1] neg_hi:[0,0,1]
	v_fmamk_f16 v15, v18, 0x3a0c, v22
	v_fmac_f16_e32 v22, 0xba0c, v18
	v_add_f16_e32 v32, v19, v32
	v_add_f16_e32 v26, v0, v26
	v_bfi_b32 v40, 0xffff, v37, v5
	v_add_f16_e32 v27, v19, v27
	v_add_f16_e32 v34, v19, v34
	v_add_f16_e32 v29, v19, v29
	v_add_f16_e32 v15, v19, v15
	v_add_f16_e32 v19, v19, v22
	v_pk_add_f16 v22, v40, v30
	v_add_f16_e32 v30, v41, v31
	v_fmamk_f16 v31, v23, 0x3a0c, v42
	v_mul_f16_e32 v40, 0x3482, v36
	v_mul_f16_e32 v41, 0xbbad, v39
	v_fma_f16 v38, v2, 0xb93d, -v38
	v_mul_f16_e32 v21, 0xba0c, v21
	v_add_f16_e32 v33, v0, v33
	v_add_f16_e32 v28, v0, v28
	;; [unrolled: 1-line block ×3, first 2 shown]
	v_fmamk_f16 v32, v2, 0xbbad, v40
	v_fmamk_f16 v43, v23, 0xb482, v41
	v_add_f16_e32 v26, v38, v26
	v_fma_f16 v38, v2, 0xbbad, -v40
	v_fmamk_f16 v35, v1, 0xb93d, v21
	v_fmac_f16_e32 v42, 0xba0c, v23
	v_add_f16_e32 v32, v32, v33
	v_add_f16_e32 v33, v43, v34
	v_mul_f16_e32 v34, 0x3beb, v36
	v_add_f16_e32 v28, v38, v28
	v_pk_add_f16 v38, v3, v4 neg_lo:[0,1] neg_hi:[0,1]
	v_pk_add_f16 v3, v4, v3
	v_add_f16_e32 v35, v0, v35
	v_fma_f16 v21, v1, 0xb93d, -v21
	v_add_f16_e32 v27, v42, v27
	v_mul_f16_e32 v36, 0xb08e, v39
	v_fmac_f16_e32 v41, 0x3482, v23
	v_fmamk_f16 v39, v2, 0xb08e, v34
	v_pk_mul_f16 v4, 0xbbeb, v38 op_sel_hi:[0,1]
	v_lshrrev_b32_e32 v42, 16, v3
	v_add_f16_e32 v21, v0, v21
	v_fmamk_f16 v40, v23, 0xbbeb, v36
	v_add_f16_e32 v29, v41, v29
	v_lshrrev_b32_e32 v41, 16, v38
	v_add_f16_e32 v35, v39, v35
	v_pk_fma_f16 v39, 0xb08e, v3, v4 op_sel:[0,0,1] op_sel_hi:[0,1,0]
	v_pk_fma_f16 v4, 0xb08e, v3, v4 op_sel:[0,0,1] op_sel_hi:[0,1,0] neg_lo:[0,0,1] neg_hi:[0,0,1]
	v_fma_f16 v34, v2, 0xb08e, -v34
	v_fmac_f16_e32 v36, 0x3beb, v23
	v_mul_f16_e32 v45, 0xbbad, v42
	v_add_f16_e32 v15, v40, v15
	v_mul_f16_e32 v40, 0x3482, v41
	v_bfi_b32 v43, 0xffff, v39, v4
	v_add_f16_e32 v21, v34, v21
	v_add_f16_e32 v19, v36, v19
	v_fmamk_f16 v34, v38, 0xb482, v45
	v_mul_f16_e32 v36, 0x3b47, v41
	v_fmamk_f16 v44, v3, 0xbbad, v40
	v_pk_add_f16 v22, v43, v22
	v_mul_f16_e32 v43, 0x36a6, v42
	v_fma_f16 v40, v3, 0xbbad, -v40
	v_add_f16_e32 v31, v34, v31
	v_fmamk_f16 v34, v3, 0x36a6, v36
	v_fma_f16 v36, v3, 0x36a6, -v36
	v_add_f16_e32 v30, v44, v30
	v_fmamk_f16 v44, v38, 0xbb47, v43
	v_add_f16_e32 v26, v40, v26
	v_add_f16_e32 v32, v34, v32
	v_mul_f16_e32 v34, 0xb853, v41
	v_mul_f16_e32 v40, 0x3abb, v42
	v_add_f16_e32 v28, v36, v28
	v_pk_add_f16 v36, v6, v13 neg_lo:[0,1] neg_hi:[0,1]
	v_fmac_f16_e32 v43, 0x3b47, v38
	v_pk_add_f16 v6, v13, v6
	v_add_f16_e32 v33, v44, v33
	v_fmamk_f16 v41, v3, 0x3abb, v34
	v_fmamk_f16 v42, v38, 0x3853, v40
	v_pk_mul_f16 v13, 0xba0c, v36 op_sel_hi:[0,1]
	v_add_f16_e32 v29, v43, v29
	v_lshrrev_b32_e32 v43, 16, v36
	v_lshrrev_b32_e32 v44, 16, v6
	v_fmac_f16_e32 v45, 0x3482, v38
	v_add_f16_e32 v35, v41, v35
	v_add_f16_e32 v15, v42, v15
	v_pk_fma_f16 v41, 0xb93d, v6, v13 op_sel:[0,0,1] op_sel_hi:[0,1,0]
	v_pk_fma_f16 v42, 0xb93d, v6, v13 op_sel:[0,0,1] op_sel_hi:[0,1,0] neg_lo:[0,0,1] neg_hi:[0,0,1]
	v_mul_f16_e32 v13, 0x3beb, v43
	v_fma_f16 v34, v3, 0x3abb, -v34
	v_fmac_f16_e32 v40, 0xb853, v38
	v_mul_f16_e32 v47, 0xb08e, v44
	v_add_f16_e32 v27, v45, v27
	v_bfi_b32 v45, 0xffff, v41, v42
	v_fmamk_f16 v46, v6, 0xb08e, v13
	v_add_f16_e32 v21, v34, v21
	v_add_f16_e32 v19, v40, v19
	v_fmamk_f16 v34, v36, 0xbbeb, v47
	v_mul_f16_e32 v40, 0xb853, v43
	v_fma_f16 v13, v6, 0xb08e, -v13
	v_fmac_f16_e32 v47, 0x3beb, v36
	v_pk_add_f16 v22, v45, v22
	v_mul_f16_e32 v45, 0x3abb, v44
	v_add_f16_e32 v31, v34, v31
	v_fmamk_f16 v34, v6, 0x3abb, v40
	v_add_f16_e32 v13, v13, v26
	v_add_f16_e32 v26, v47, v27
	v_fma_f16 v27, v6, 0x3abb, -v40
	v_add_f16_e32 v30, v46, v30
	v_fmamk_f16 v46, v36, 0x3853, v45
	v_add_f16_e32 v32, v34, v32
	v_mul_f16_e32 v34, 0xb482, v43
	v_mul_f16_e32 v40, 0xbbad, v44
	v_add_f16_e32 v27, v27, v28
	v_pk_add_f16 v28, v7, v12 neg_lo:[0,1] neg_hi:[0,1]
	v_fmac_f16_e32 v45, 0xb853, v36
	v_fmamk_f16 v43, v6, 0xbbad, v34
	v_fmamk_f16 v44, v36, 0x3482, v40
	v_pk_add_f16 v7, v12, v7
	v_pk_mul_f16 v12, 0xb482, v28 op_sel_hi:[0,1]
	v_add_f16_e32 v29, v45, v29
	v_lshrrev_b32_e32 v45, 16, v28
	v_add_f16_e32 v33, v46, v33
	v_add_f16_e32 v35, v43, v35
	;; [unrolled: 1-line block ×3, first 2 shown]
	v_pk_fma_f16 v43, 0xbbad, v7, v12 op_sel:[0,0,1] op_sel_hi:[0,1,0]
	v_pk_fma_f16 v44, 0xbbad, v7, v12 op_sel:[0,0,1] op_sel_hi:[0,1,0] neg_lo:[0,0,1] neg_hi:[0,0,1]
	v_mul_f16_e32 v12, 0x3853, v45
	v_fma_f16 v34, v6, 0xbbad, -v34
	v_lshrrev_b32_e32 v46, 16, v7
	v_fmac_f16_e32 v40, 0xb482, v36
	v_bfi_b32 v47, 0xffff, v43, v44
	v_fmamk_f16 v48, v7, 0x3abb, v12
	v_add_f16_e32 v21, v34, v21
	v_mul_f16_e32 v34, 0x3abb, v46
	v_add_f16_e32 v19, v40, v19
	v_pk_add_f16 v22, v47, v22
	v_add_f16_e32 v30, v48, v30
	v_mul_f16_e32 v40, 0xba0c, v45
	v_fmamk_f16 v47, v28, 0xb853, v34
	v_fma_f16 v12, v7, 0x3abb, -v12
	v_fmac_f16_e32 v34, 0x3853, v28
	v_mul_f16_e32 v48, 0xb93d, v46
	v_fmamk_f16 v49, v7, 0xb93d, v40
	v_pk_mul_f16 v1, 0xbbad, v1 op_sel_hi:[0,1]
	v_add_f16_e32 v12, v12, v13
	v_add_f16_e32 v13, v34, v26
	v_fmamk_f16 v26, v28, 0x3a0c, v48
	v_fma_f16 v34, v7, 0xb93d, -v40
	v_mul_f16_e32 v40, 0x3b47, v45
	v_pk_mul_f16 v2, 0x3abb, v2 op_sel_hi:[0,1]
	v_add_f16_e32 v31, v47, v31
	v_add_f16_e32 v26, v26, v33
	v_mul_f16_e32 v33, 0x36a6, v46
	v_add_f16_e32 v27, v34, v27
	v_fmamk_f16 v34, v7, 0x36a6, v40
	v_add_f16_e32 v32, v49, v32
	v_pk_mul_f16 v3, 0xb93d, v3 op_sel_hi:[0,1]
	v_fmamk_f16 v45, v28, 0xbb47, v33
	v_fmac_f16_e32 v33, 0x3b47, v28
	v_add_f16_e32 v34, v34, v35
	v_pk_fma_f16 v35, 0xb482, v18, v1 op_sel:[0,0,1] op_sel_hi:[0,1,0]
	v_pk_fma_f16 v1, 0xb482, v18, v1 op_sel:[0,0,1] op_sel_hi:[0,1,0] neg_lo:[0,1,0] neg_hi:[0,1,0]
	v_pk_fma_f16 v18, 0x3853, v23, v2 op_sel:[0,0,1] op_sel_hi:[0,1,0]
	v_add_f16_e32 v19, v33, v19
	v_pack_b32_f16 v26, v32, v26
	v_alignbit_b32 v33, s0, v35, 16
	v_pack_b32_f16 v30, v30, v31
	v_alignbit_b32 v32, s0, v0, 16
	v_pk_add_f16 v1, v0, v1 op_sel:[1,0] op_sel_hi:[0,1]
	v_pk_fma_f16 v2, 0x3853, v23, v2 op_sel:[0,0,1] op_sel_hi:[0,1,0] neg_lo:[0,1,0] neg_hi:[0,1,0]
	v_pk_add_f16 v31, v0, v33
	v_alignbit_b32 v33, s0, v18, 16
	v_pk_fma_f16 v23, 0xba0c, v38, v3 op_sel:[0,0,1] op_sel_hi:[0,1,0]
	v_pk_mul_f16 v6, 0x36a6, v6 op_sel_hi:[0,1]
	v_bfi_b32 v20, 0xffff, v20, v25
	v_pk_add_f16 v32, v32, v35
	v_pk_add_f16 v31, v33, v31
	;; [unrolled: 1-line block ×3, first 2 shown]
	v_alignbit_b32 v2, s0, v23, 16
	v_pk_fma_f16 v3, 0xba0c, v38, v3 op_sel:[0,0,1] op_sel_hi:[0,1,0] neg_lo:[0,1,0] neg_hi:[0,1,0]
	v_pk_fma_f16 v33, 0x3b47, v36, v6 op_sel:[0,0,1] op_sel_hi:[0,1,0]
	v_pk_add_f16 v0, v0, v20
	v_bfi_b32 v5, 0xffff, v5, v37
	v_fma_f16 v40, v7, 0x36a6, -v40
	v_pk_add_f16 v18, v18, v32
	v_pk_add_f16 v2, v2, v31
	v_pk_add_f16 v1, v3, v1
	v_alignbit_b32 v3, s0, v33, 16
	v_pk_mul_f16 v7, 0xb08e, v7 op_sel_hi:[0,1]
	v_pk_add_f16 v0, v5, v0
	v_bfi_b32 v4, 0xffff, v4, v39
	v_pk_add_f16 v18, v23, v18
	v_pk_fma_f16 v6, 0x3b47, v36, v6 op_sel:[0,0,1] op_sel_hi:[0,1,0] neg_lo:[0,1,0] neg_hi:[0,1,0]
	v_pk_add_f16 v2, v3, v2
	v_pk_fma_f16 v3, 0xbbeb, v28, v7 op_sel:[0,0,1] op_sel_hi:[0,1,0]
	v_pk_add_f16 v0, v4, v0
	v_bfi_b32 v4, 0xffff, v42, v41
	v_pk_add_f16 v1, v6, v1
	v_pk_fma_f16 v5, 0xbbeb, v28, v7 op_sel:[0,0,1] op_sel_hi:[0,1,0] neg_lo:[0,1,0] neg_hi:[0,1,0]
	v_pk_add_f16 v6, v33, v18
	v_alignbit_b32 v7, s0, v3, 16
	v_fmac_f16_e32 v48, 0xba0c, v28
	v_add_f16_e32 v15, v45, v15
	v_pk_add_f16 v0, v4, v0
	v_bfi_b32 v4, 0xffff, v44, v43
	v_pk_add_f16 v1, v5, v1
	v_pk_add_f16 v3, v3, v6
	v_pk_add_f16 v2, v7, v2
	v_add_f16_e32 v29, v48, v29
	v_add_f16_e32 v21, v40, v21
	v_pack_b32_f16 v5, v34, v15
	v_pk_add_f16 v15, v4, v0
	v_add_nc_u32_e32 v4, 0xe00, v24
	v_alignbit_b32 v3, v3, v1, 16
	v_pack_b32_f16 v1, v2, v1
	v_pack_b32_f16 v2, v27, v29
	;; [unrolled: 1-line block ×4, first 2 shown]
	ds_store_2addr_b32 v17, v14, v22 offset1:1
	ds_store_2addr_b32 v17, v30, v26 offset0:2 offset1:3
	ds_store_b32 v17, v5 offset:16
	ds_store_2addr_b32 v17, v1, v3 offset0:5 offset1:6
	ds_store_2addr_b32 v17, v6, v2 offset0:7 offset1:8
	;; [unrolled: 1-line block ×3, first 2 shown]
	global_wb scope:SCOPE_SE
	s_wait_dscnt 0x0
	s_barrier_signal -1
	s_barrier_wait -1
	global_inv scope:SCOPE_SE
	ds_load_2addr_b32 v[2:3], v24 offset1:132
	ds_load_2addr_b32 v[0:1], v9 offset0:8 offset1:228
	ds_load_2addr_b32 v[6:7], v4 offset0:72 offset1:204
	;; [unrolled: 1-line block ×3, first 2 shown]
	ds_load_b32 v16, v24 offset:4928
	v_lshrrev_b32_e32 v19, 16, v15
	v_cmp_gt_u32_e64 s0, 0x58, v8
                                        ; implicit-def: $vgpr18
                                        ; implicit-def: $vgpr17
	s_delay_alu instid0(VALU_DEP_1)
	s_and_saveexec_b32 s1, s0
	s_cbranch_execz .LBB0_21
; %bb.20:
	ds_load_b32 v12, v24 offset:1584
	ds_load_b32 v17, v24 offset:5456
	ds_load_b32 v15, v24 offset:3520
	s_wait_dscnt 0x2
	v_lshrrev_b32_e32 v13, 16, v12
	s_wait_dscnt 0x1
	v_lshrrev_b32_e32 v18, 16, v17
	;; [unrolled: 2-line block ×3, first 2 shown]
.LBB0_21:
	s_wait_alu 0xfffe
	s_or_b32 exec_lo, exec_lo, s1
	v_and_b32_e32 v14, 0xff, v8
	v_add_nc_u32_e32 v22, 0x84, v8
	v_add_nc_u32_e32 v23, 0x18c, v8
	s_wait_dscnt 0x3
	v_lshrrev_b32_e32 v40, 16, v1
	s_wait_dscnt 0x2
	v_lshrrev_b32_e32 v41, 16, v6
	v_mul_lo_u16 v9, 0x75, v14
	v_and_b32_e32 v25, 0xffff, v22
	s_wait_dscnt 0x1
	v_lshrrev_b32_e32 v42, 16, v4
	v_lshrrev_b32_e32 v43, 16, v7
	;; [unrolled: 1-line block ×3, first 2 shown]
	v_lshrrev_b16 v20, 8, v9
	v_mul_u32_u24_e32 v25, 0xba2f, v25
	s_wait_dscnt 0x0
	v_lshrrev_b32_e32 v45, 16, v16
	v_lshrrev_b32_e32 v37, 16, v2
	;; [unrolled: 1-line block ×3, first 2 shown]
	v_sub_nc_u16 v9, v8, v20
	v_lshrrev_b32_e32 v34, 19, v25
	v_lshrrev_b32_e32 v39, 16, v0
	s_delay_alu instid0(VALU_DEP_3) | instskip(SKIP_1) | instid1(VALU_DEP_4)
	v_lshrrev_b16 v21, 1, v9
	v_add_nc_u32_e32 v9, 0x108, v8
	v_mul_lo_u16 v25, v34, 11
	v_mul_u32_u24_e32 v34, 0x84, v34
	s_delay_alu instid0(VALU_DEP_4) | instskip(NEXT) | instid1(VALU_DEP_4)
	v_and_b32_e32 v21, 0x7f, v21
	v_and_b32_e32 v26, 0xffff, v9
	s_delay_alu instid0(VALU_DEP_4) | instskip(NEXT) | instid1(VALU_DEP_3)
	v_sub_nc_u16 v22, v22, v25
	v_add_nc_u16 v20, v21, v20
	v_and_b32_e32 v21, 0xffff, v23
	s_delay_alu instid0(VALU_DEP_4) | instskip(NEXT) | instid1(VALU_DEP_4)
	v_mul_u32_u24_e32 v26, 0xba2f, v26
	v_and_b32_e32 v22, 0xffff, v22
	s_delay_alu instid0(VALU_DEP_4) | instskip(NEXT) | instid1(VALU_DEP_4)
	v_lshrrev_b16 v33, 3, v20
	v_mul_u32_u24_e32 v20, 0xba2f, v21
	s_delay_alu instid0(VALU_DEP_4) | instskip(NEXT) | instid1(VALU_DEP_3)
	v_lshrrev_b32_e32 v35, 19, v26
	v_mul_lo_u16 v21, v33, 11
	s_delay_alu instid0(VALU_DEP_3) | instskip(NEXT) | instid1(VALU_DEP_3)
	v_lshrrev_b32_e32 v20, 19, v20
	v_mul_lo_u16 v26, v35, 11
	v_mul_u32_u24_e32 v35, 0x84, v35
	v_and_b32_e32 v33, 0xffff, v33
	v_sub_nc_u16 v21, v8, v21
	v_mul_lo_u16 v27, v20, 11
	v_sub_nc_u16 v25, v9, v26
	s_delay_alu instid0(VALU_DEP_3) | instskip(NEXT) | instid1(VALU_DEP_3)
	v_and_b32_e32 v36, 0xff, v21
	v_sub_nc_u16 v21, v23, v27
	s_delay_alu instid0(VALU_DEP_3)
	v_and_b32_e32 v23, 0xffff, v25
	v_lshlrev_b32_e32 v27, 3, v22
	v_lshlrev_b32_e32 v22, 2, v22
	v_lshlrev_b32_e32 v25, 3, v36
	v_and_b32_e32 v21, 0xffff, v21
	v_lshlrev_b32_e32 v29, 3, v23
	v_lshlrev_b32_e32 v23, 2, v23
	v_add3_u32 v34, 0, v34, v22
	global_load_b64 v[25:26], v25, s[4:5]
	v_lshlrev_b32_e32 v31, 3, v21
	v_mul_u32_u24_e32 v22, 0x84, v33
	s_clause 0x2
	global_load_b64 v[27:28], v27, s[4:5]
	global_load_b64 v[29:30], v29, s[4:5]
	;; [unrolled: 1-line block ×3, first 2 shown]
	v_add3_u32 v35, 0, v35, v23
	v_lshlrev_b32_e32 v23, 2, v36
	global_wb scope:SCOPE_SE
	s_wait_loadcnt 0x0
	s_barrier_signal -1
	s_barrier_wait -1
	global_inv scope:SCOPE_SE
	v_add3_u32 v33, 0, v22, v23
	v_lshrrev_b32_e32 v22, 16, v25
	v_lshrrev_b32_e32 v23, 16, v26
	;; [unrolled: 1-line block ×8, first 2 shown]
	v_mul_f16_e32 v51, v22, v40
	v_mul_f16_e32 v52, v22, v1
	;; [unrolled: 1-line block ×16, first 2 shown]
	v_fmac_f16_e32 v51, v25, v1
	v_fma_f16 v25, v25, v40, -v52
	v_fmac_f16_e32 v53, v26, v6
	v_fma_f16 v26, v26, v41, -v54
	;; [unrolled: 2-line block ×8, first 2 shown]
	v_add_f16_e32 v17, v51, v53
	v_sub_f16_e32 v18, v25, v26
	v_add_f16_e32 v19, v37, v25
	v_add_f16_e32 v25, v25, v26
	;; [unrolled: 1-line block ×7, first 2 shown]
	v_sub_f16_e32 v27, v51, v53
	v_add_f16_e32 v31, v38, v6
	v_add_f16_e32 v46, v23, v22
	;; [unrolled: 1-line block ×3, first 2 shown]
	v_fma_f16 v17, -0.5, v17, v2
	v_fmac_f16_e32 v37, -0.5, v25
	v_add_f16_e32 v28, v3, v55
	v_sub_f16_e32 v30, v6, v7
	v_sub_f16_e32 v36, v55, v56
	v_fmac_f16_e32 v3, -0.5, v29
	v_fmac_f16_e32 v38, -0.5, v32
	v_add_f16_e32 v40, v0, v57
	v_sub_f16_e32 v42, v5, v16
	v_add_f16_e32 v43, v39, v5
	v_sub_f16_e32 v45, v57, v58
	v_fmac_f16_e32 v0, -0.5, v41
	v_fmac_f16_e32 v39, -0.5, v44
	v_sub_f16_e32 v5, v4, v1
	v_sub_f16_e32 v6, v23, v22
	v_add_f16_e32 v15, v15, v53
	v_add_f16_e32 v19, v19, v26
	;; [unrolled: 1-line block ×3, first 2 shown]
	v_fma_f16 v2, -0.5, v46, v12
	v_fma_f16 v7, -0.5, v47, v13
	v_fmamk_f16 v32, v18, 0xbaee, v17
	v_fmac_f16_e32 v17, 0x3aee, v18
	v_fmamk_f16 v18, v27, 0x3aee, v37
	v_fmac_f16_e32 v37, 0xbaee, v27
	v_add_f16_e32 v28, v28, v56
	v_fmamk_f16 v27, v30, 0xbaee, v3
	v_fmac_f16_e32 v3, 0x3aee, v30
	v_fmamk_f16 v30, v36, 0x3aee, v38
	v_fmac_f16_e32 v38, 0xbaee, v36
	v_add_f16_e32 v31, v40, v58
	v_add_f16_e32 v16, v43, v16
	v_fmamk_f16 v36, v42, 0xbaee, v0
	v_fmamk_f16 v40, v45, 0x3aee, v39
	v_fmac_f16_e32 v0, 0x3aee, v42
	v_fmac_f16_e32 v39, 0xbaee, v45
	v_fmamk_f16 v25, v5, 0x3aee, v2
	v_fmamk_f16 v26, v6, 0xbaee, v7
	v_pack_b32_f16 v15, v15, v19
	v_pack_b32_f16 v18, v32, v18
	;; [unrolled: 1-line block ×9, first 2 shown]
	ds_store_2addr_b32 v33, v15, v18 offset1:11
	ds_store_b32 v33, v17 offset:88
	ds_store_2addr_b32 v34, v19, v27 offset1:11
	ds_store_b32 v34, v3 offset:88
	;; [unrolled: 2-line block ×3, first 2 shown]
	s_and_saveexec_b32 s1, s0
	s_cbranch_execz .LBB0_23
; %bb.22:
	v_mul_lo_u16 v3, v20, 33
	v_mul_f16_e32 v0, 0x3aee, v6
	v_mul_f16_e32 v5, 0x3aee, v5
	v_add_f16_e32 v4, v13, v4
	v_add_f16_e32 v6, v12, v23
	v_and_b32_e32 v3, 0xffff, v3
	v_add_f16_e32 v0, v0, v7
	v_sub_f16_e32 v2, v2, v5
	v_add_f16_e32 v1, v4, v1
	v_add_f16_e32 v4, v6, v22
	v_lshlrev_b32_e32 v5, 2, v21
	v_lshlrev_b32_e32 v3, 2, v3
	v_pack_b32_f16 v0, v2, v0
	s_delay_alu instid0(VALU_DEP_4) | instskip(NEXT) | instid1(VALU_DEP_3)
	v_pack_b32_f16 v1, v4, v1
	v_add3_u32 v2, 0, v5, v3
	v_perm_b32 v3, v26, v25, 0x5040100
	ds_store_2addr_b32 v2, v1, v0 offset1:11
	ds_store_b32 v2, v3 offset:88
.LBB0_23:
	s_wait_alu 0xfffe
	s_or_b32 exec_lo, exec_lo, s1
	v_mul_lo_u16 v0, 0xf9, v14
	global_wb scope:SCOPE_SE
	s_wait_dscnt 0x0
	s_barrier_signal -1
	s_barrier_wait -1
	global_inv scope:SCOPE_SE
	v_lshrrev_b16 v31, 13, v0
	v_add_nc_u32_e32 v16, 0xc00, v24
	v_add_nc_u32_e32 v27, 0x1000, v24
	;; [unrolled: 1-line block ×4, first 2 shown]
	v_mul_lo_u16 v0, v31, 33
	v_and_b32_e32 v32, 0xffff, v31
	v_add_nc_u32_e32 v31, 0xa00, v24
	v_cmp_gt_u32_e64 s0, 0x63, v8
	s_delay_alu instid0(VALU_DEP_4) | instskip(NEXT) | instid1(VALU_DEP_4)
	v_sub_nc_u16 v0, v8, v0
	v_mul_u32_u24_e32 v32, 0x5ac, v32
	s_delay_alu instid0(VALU_DEP_2) | instskip(NEXT) | instid1(VALU_DEP_1)
	v_and_b32_e32 v29, 0xff, v0
	v_mul_u32_u24_e32 v0, 10, v29
	v_lshlrev_b32_e32 v29, 2, v29
	s_delay_alu instid0(VALU_DEP_2) | instskip(NEXT) | instid1(VALU_DEP_2)
	v_lshlrev_b32_e32 v12, 2, v0
	v_add3_u32 v29, 0, v32, v29
	s_clause 0x2
	global_load_b128 v[0:3], v12, s[4:5] offset:88
	global_load_b128 v[4:7], v12, s[4:5] offset:104
	global_load_b64 v[14:15], v12, s[4:5] offset:120
	ds_load_b32 v30, v24 offset:5280
	ds_load_2addr_b32 v[12:13], v24 offset1:132
	ds_load_2addr_b32 v[18:19], v16 offset0:24 offset1:156
	ds_load_2addr_b32 v[16:17], v27 offset0:32 offset1:164
	;; [unrolled: 1-line block ×4, first 2 shown]
	v_add_nc_u32_e32 v32, 0x400, v29
	global_wb scope:SCOPE_SE
	s_wait_loadcnt_dscnt 0x0
	s_barrier_signal -1
	s_barrier_wait -1
	global_inv scope:SCOPE_SE
	v_lshrrev_b32_e32 v33, 16, v30
	v_lshrrev_b32_e32 v34, 16, v13
	;; [unrolled: 1-line block ×21, first 2 shown]
	v_mul_f16_e32 v54, v44, v34
	v_mul_f16_e32 v44, v44, v13
	;; [unrolled: 1-line block ×20, first 2 shown]
	v_fmac_f16_e32 v54, v0, v13
	v_fma_f16 v0, v0, v34, -v44
	v_fmac_f16_e32 v59, v18, v5
	v_fma_f16 v18, v33, v15, -v53
	;; [unrolled: 2-line block ×6, first 2 shown]
	v_fma_f16 v5, v36, v5, -v49
	v_fmac_f16_e32 v60, v19, v6
	v_fma_f16 v6, v37, v6, -v50
	v_fmac_f16_e32 v61, v16, v7
	;; [unrolled: 2-line block ×3, first 2 shown]
	v_fmac_f16_e32 v63, v30, v15
	v_fma_f16 v19, v39, v14, -v52
	v_add_f16_e32 v13, v54, v12
	v_add_f16_e32 v14, v0, v35
	;; [unrolled: 1-line block ×3, first 2 shown]
	v_sub_f16_e32 v0, v0, v18
	v_add_f16_e32 v15, v54, v63
	v_add_f16_e32 v21, v1, v19
	v_sub_f16_e32 v23, v1, v19
	v_add_f16_e32 v33, v2, v7
	v_sub_f16_e32 v36, v2, v7
	v_sub_f16_e32 v38, v3, v6
	v_add_f16_e32 v39, v3, v6
	v_sub_f16_e32 v41, v4, v5
	v_add_f16_e32 v43, v4, v5
	v_add_f16_e32 v13, v13, v55
	;; [unrolled: 1-line block ×3, first 2 shown]
	v_mul_f16_e32 v14, 0xb853, v0
	v_mul_f16_e32 v46, 0xbb47, v0
	;; [unrolled: 1-line block ×5, first 2 shown]
	v_sub_f16_e32 v17, v54, v63
	v_add_f16_e32 v20, v55, v62
	v_sub_f16_e32 v22, v55, v62
	v_add_f16_e32 v30, v56, v61
	;; [unrolled: 2-line block ×4, first 2 shown]
	v_sub_f16_e32 v44, v58, v59
	v_mul_f16_e32 v45, 0x3abb, v16
	v_mul_f16_e32 v47, 0x36a6, v16
	;; [unrolled: 1-line block ×45, first 2 shown]
	v_add_f16_e32 v13, v13, v56
	v_add_f16_e32 v1, v1, v2
	v_fmamk_f16 v2, v15, 0x3abb, v14
	v_fma_f16 v14, v15, 0x3abb, -v14
	v_fmamk_f16 v92, v15, 0x36a6, v46
	v_fma_f16 v46, v15, 0x36a6, -v46
	;; [unrolled: 2-line block ×5, first 2 shown]
	v_fmamk_f16 v56, v17, 0x3853, v45
	v_fmac_f16_e32 v45, 0xb853, v17
	v_fmamk_f16 v93, v17, 0x3b47, v47
	v_fmac_f16_e32 v47, 0xbb47, v17
	;; [unrolled: 2-line block ×5, first 2 shown]
	v_fmamk_f16 v15, v20, 0x36a6, v52
	v_fmamk_f16 v17, v22, 0x3b47, v53
	v_fma_f16 v52, v20, 0x36a6, -v52
	v_fmac_f16_e32 v53, 0xbb47, v22
	v_fmamk_f16 v100, v20, 0xb93d, v54
	v_fmamk_f16 v101, v22, 0x3a0c, v55
	v_fma_f16 v54, v20, 0xb93d, -v54
	v_fmac_f16_e32 v55, 0xba0c, v22
	;; [unrolled: 4-line block ×9, first 2 shown]
	v_fmamk_f16 v114, v30, 0xb93d, v36
	v_fma_f16 v30, v30, 0xb93d, -v36
	v_fmamk_f16 v36, v34, 0x3a0c, v33
	v_fmac_f16_e32 v33, 0xba0c, v34
	v_fmamk_f16 v34, v37, 0xb93d, v76
	v_fma_f16 v76, v37, 0xb93d, -v76
	v_fmamk_f16 v115, v37, 0xb08e, v77
	v_fma_f16 v77, v37, 0xb08e, -v77
	;; [unrolled: 2-line block ×5, first 2 shown]
	v_fmamk_f16 v38, v40, 0x3a0c, v80
	v_fmac_f16_e32 v80, 0xba0c, v40
	v_fmamk_f16 v119, v40, 0xbbeb, v81
	v_fmac_f16_e32 v81, 0x3beb, v40
	;; [unrolled: 2-line block ×5, first 2 shown]
	v_fmamk_f16 v40, v42, 0xbbad, v84
	v_fma_f16 v84, v42, 0xbbad, -v84
	v_fmamk_f16 v123, v42, 0x3abb, v85
	v_fma_f16 v85, v42, 0x3abb, -v85
	;; [unrolled: 2-line block ×5, first 2 shown]
	v_fmamk_f16 v42, v44, 0x3482, v88
	v_fmac_f16_e32 v88, 0xb482, v44
	v_fmamk_f16 v127, v44, 0xb853, v89
	v_fmac_f16_e32 v89, 0x3853, v44
	v_fma_f16 v128, 0x3a0c, v44, v90
	v_fmac_f16_e32 v90, 0xba0c, v44
	v_fma_f16 v129, 0xbb47, v44, v91
	;; [unrolled: 2-line block ×3, first 2 shown]
	v_fmac_f16_e32 v43, 0xbbeb, v44
	v_add_f16_e32 v2, v2, v12
	v_add_f16_e32 v14, v14, v12
	;; [unrolled: 1-line block ×102, first 2 shown]
	v_add_f16_e64 v7, v128, v21
	v_add_f16_e32 v20, v125, v33
	v_add_f16_e64 v21, v129, v34
	v_add_f16_e32 v30, v126, v44
	;; [unrolled: 2-line block ×3, first 2 shown]
	v_add_f16_e32 v23, v91, v38
	v_add_f16_e32 v0, v41, v0
	;; [unrolled: 1-line block ×6, first 2 shown]
	v_pack_b32_f16 v2, v2, v3
	v_pack_b32_f16 v3, v4, v5
	;; [unrolled: 1-line block ×11, first 2 shown]
	ds_store_2addr_b32 v29, v3, v4 offset0:66 offset1:99
	ds_store_2addr_b32 v29, v5, v6 offset0:132 offset1:165
	;; [unrolled: 1-line block ×4, first 2 shown]
	ds_store_b32 v29, v21 offset:1320
	ds_store_2addr_b32 v29, v1, v2 offset1:33
	global_wb scope:SCOPE_SE
	s_wait_dscnt 0x0
	s_barrier_signal -1
	s_barrier_wait -1
	global_inv scope:SCOPE_SE
	ds_load_2addr_b32 v[0:1], v24 offset1:132
	ds_load_2addr_b32 v[6:7], v28 offset0:107 offset1:239
	ds_load_2addr_b32 v[4:5], v31 offset0:86 offset1:218
	;; [unrolled: 1-line block ×3, first 2 shown]
	s_and_saveexec_b32 s1, s0
	s_cbranch_execz .LBB0_25
; %bb.24:
	ds_load_b32 v12, v24 offset:1056
	ds_load_b32 v14, v24 offset:3960
	;; [unrolled: 1-line block ×4, first 2 shown]
	s_wait_dscnt 0x3
	v_lshrrev_b32_e32 v13, 16, v12
	s_wait_dscnt 0x2
	v_lshrrev_b32_e32 v15, 16, v14
	;; [unrolled: 2-line block ×4, first 2 shown]
.LBB0_25:
	s_wait_alu 0xfffe
	s_or_b32 exec_lo, exec_lo, s1
	v_mul_u32_u24_e32 v18, 3, v8
	s_wait_dscnt 0x0
	v_lshrrev_b32_e32 v32, 16, v3
	v_lshrrev_b32_e32 v33, 16, v5
	;; [unrolled: 1-line block ×4, first 2 shown]
	v_lshlrev_b32_e32 v21, 2, v18
	v_lshrrev_b32_e32 v36, 16, v4
	v_lshrrev_b32_e32 v37, 16, v6
	;; [unrolled: 1-line block ×4, first 2 shown]
	s_clause 0x1
	global_load_b96 v[18:20], v21, s[4:5] offset:1408
	global_load_b96 v[21:23], v21, s[4:5] offset:2992
	global_wb scope:SCOPE_SE
	s_wait_loadcnt 0x0
	s_barrier_signal -1
	s_barrier_wait -1
	global_inv scope:SCOPE_SE
	v_lshrrev_b32_e32 v38, 16, v18
	v_lshrrev_b32_e32 v39, 16, v19
	v_lshrrev_b32_e32 v40, 16, v20
	v_lshrrev_b32_e32 v41, 16, v21
	v_lshrrev_b32_e32 v42, 16, v22
	v_lshrrev_b32_e32 v43, 16, v23
	v_mul_f16_e32 v44, v38, v37
	v_mul_f16_e32 v38, v38, v6
	;; [unrolled: 1-line block ×12, first 2 shown]
	v_fmac_f16_e32 v44, v18, v6
	v_fma_f16 v6, v18, v37, -v38
	v_fmac_f16_e32 v45, v19, v4
	v_fma_f16 v4, v19, v36, -v39
	;; [unrolled: 2-line block ×6, first 2 shown]
	v_sub_f16_e32 v18, v0, v45
	v_sub_f16_e32 v4, v29, v4
	;; [unrolled: 1-line block ×8, first 2 shown]
	v_fma_f16 v0, v0, 2.0, -v18
	v_fma_f16 v22, v29, 2.0, -v4
	;; [unrolled: 1-line block ×8, first 2 shown]
	v_add_f16_e32 v2, v18, v2
	v_sub_f16_e32 v19, v4, v19
	v_add_f16_e32 v3, v20, v3
	v_sub_f16_e32 v21, v5, v21
	v_sub_f16_e32 v23, v0, v23
	;; [unrolled: 1-line block ×5, first 2 shown]
	v_fma_f16 v18, v18, 2.0, -v2
	v_fma_f16 v4, v4, 2.0, -v19
	;; [unrolled: 1-line block ×4, first 2 shown]
	v_pack_b32_f16 v2, v2, v19
	v_fma_f16 v0, v0, 2.0, -v23
	v_fma_f16 v19, v22, 2.0, -v6
	;; [unrolled: 1-line block ×4, first 2 shown]
	v_pack_b32_f16 v4, v18, v4
	v_pack_b32_f16 v5, v20, v5
	v_pack_b32_f16 v6, v23, v6
	v_pack_b32_f16 v7, v30, v7
	v_pack_b32_f16 v0, v0, v19
	v_pack_b32_f16 v1, v1, v22
	v_pack_b32_f16 v3, v3, v21
	ds_store_2addr_b32 v28, v4, v5 offset0:107 offset1:239
	ds_store_2addr_b32 v31, v6, v7 offset0:86 offset1:218
	ds_store_2addr_b32 v24, v0, v1 offset1:132
	ds_store_2addr_b32 v27, v2, v3 offset0:65 offset1:197
	s_and_saveexec_b32 s1, s0
	s_cbranch_execz .LBB0_27
; %bb.26:
	v_dual_mov_b32 v1, 0 :: v_dual_add_nc_u32 v0, 0xffffff9d, v8
	s_delay_alu instid0(VALU_DEP_1) | instskip(NEXT) | instid1(VALU_DEP_1)
	v_cndmask_b32_e64 v0, v0, v9, s0
	v_mul_i32_i24_e32 v0, 3, v0
	s_delay_alu instid0(VALU_DEP_1) | instskip(NEXT) | instid1(VALU_DEP_1)
	v_lshlrev_b64_e32 v[0:1], 2, v[0:1]
	v_add_co_u32 v0, s0, s4, v0
	s_wait_alu 0xf1ff
	s_delay_alu instid0(VALU_DEP_2)
	v_add_co_ci_u32_e64 v1, s0, s5, v1, s0
	global_load_b96 v[0:2], v[0:1], off offset:1408
	s_wait_loadcnt 0x0
	v_lshrrev_b32_e32 v3, 16, v1
	v_lshrrev_b32_e32 v4, 16, v0
	;; [unrolled: 1-line block ×3, first 2 shown]
	s_delay_alu instid0(VALU_DEP_3) | instskip(NEXT) | instid1(VALU_DEP_3)
	v_mul_f16_e32 v6, v15, v3
	v_mul_f16_e32 v7, v16, v4
	s_delay_alu instid0(VALU_DEP_3)
	v_mul_f16_e32 v9, v25, v5
	v_mul_f16_e32 v4, v17, v4
	;; [unrolled: 1-line block ×4, first 2 shown]
	v_fmac_f16_e32 v6, v14, v1
	v_fma_f16 v7, v17, v0, -v7
	v_fmac_f16_e32 v4, v16, v0
	v_fmac_f16_e32 v5, v25, v2
	v_fma_f16 v0, v15, v1, -v3
	v_fma_f16 v1, v26, v2, -v9
	v_sub_f16_e32 v2, v12, v6
	s_delay_alu instid0(VALU_DEP_4) | instskip(NEXT) | instid1(VALU_DEP_4)
	v_sub_f16_e32 v3, v4, v5
	v_sub_f16_e32 v0, v13, v0
	s_delay_alu instid0(VALU_DEP_4) | instskip(NEXT) | instid1(VALU_DEP_4)
	v_sub_f16_e32 v1, v7, v1
	v_fma_f16 v5, v12, 2.0, -v2
	s_delay_alu instid0(VALU_DEP_4) | instskip(NEXT) | instid1(VALU_DEP_4)
	v_fma_f16 v4, v4, 2.0, -v3
	v_fma_f16 v6, v13, 2.0, -v0
	s_delay_alu instid0(VALU_DEP_4) | instskip(SKIP_3) | instid1(VALU_DEP_4)
	v_fma_f16 v7, v7, 2.0, -v1
	v_add_f16_e32 v1, v2, v1
	v_sub_f16_e32 v3, v0, v3
	v_sub_f16_e32 v4, v5, v4
	v_sub_f16_e32 v7, v6, v7
	s_delay_alu instid0(VALU_DEP_4) | instskip(NEXT) | instid1(VALU_DEP_4)
	v_fma_f16 v2, v2, 2.0, -v1
	v_fma_f16 v0, v0, 2.0, -v3
	s_delay_alu instid0(VALU_DEP_4) | instskip(SKIP_2) | instid1(VALU_DEP_4)
	v_fma_f16 v5, v5, 2.0, -v4
	v_pack_b32_f16 v1, v1, v3
	v_fma_f16 v6, v6, 2.0, -v7
	v_pack_b32_f16 v0, v2, v0
	v_pack_b32_f16 v2, v4, v7
	s_delay_alu instid0(VALU_DEP_3)
	v_pack_b32_f16 v5, v5, v6
	ds_store_b32 v24, v5 offset:1056
	ds_store_b32 v24, v0 offset:2508
	;; [unrolled: 1-line block ×4, first 2 shown]
.LBB0_27:
	s_wait_alu 0xfffe
	s_or_b32 exec_lo, exec_lo, s1
	global_wb scope:SCOPE_SE
	s_wait_dscnt 0x0
	s_barrier_signal -1
	s_barrier_wait -1
	global_inv scope:SCOPE_SE
	s_and_saveexec_b32 s0, vcc_lo
	s_cbranch_execz .LBB0_29
; %bb.28:
	v_dual_mov_b32 v9, 0 :: v_dual_add_nc_u32 v0, 0x84, v8
	v_lshl_add_u32 v32, v8, 2, 0
	v_add_co_u32 v33, vcc_lo, s8, v10
	s_delay_alu instid0(VALU_DEP_3) | instskip(SKIP_1) | instid1(VALU_DEP_4)
	v_dual_mov_b32 v1, v9 :: v_dual_add_nc_u32 v6, 0x108, v8
	v_lshlrev_b64_e32 v[2:3], 2, v[8:9]
	v_dual_mov_b32 v7, v9 :: v_dual_add_nc_u32 v10, 0x400, v32
	s_wait_alu 0xfffd
	v_add_co_ci_u32_e32 v34, vcc_lo, s9, v11, vcc_lo
	v_lshlrev_b64_e32 v[0:1], 2, v[0:1]
	v_dual_mov_b32 v13, v9 :: v_dual_add_nc_u32 v12, 0x18c, v8
	v_add_co_u32 v2, vcc_lo, v33, v2
	v_lshlrev_b64_e32 v[6:7], 2, v[6:7]
	v_dual_mov_b32 v15, v9 :: v_dual_add_nc_u32 v14, 0x210, v8
	s_wait_alu 0xfffd
	v_add_co_ci_u32_e32 v3, vcc_lo, v34, v3, vcc_lo
	v_add_co_u32 v0, vcc_lo, v33, v0
	v_lshlrev_b64_e32 v[12:13], 2, v[12:13]
	v_dual_mov_b32 v17, v9 :: v_dual_add_nc_u32 v18, 0x800, v32
	v_dual_mov_b32 v21, v9 :: v_dual_add_nc_u32 v16, 0x294, v8
	s_wait_alu 0xfffd
	v_add_co_ci_u32_e32 v1, vcc_lo, v34, v1, vcc_lo
	v_add_co_u32 v6, vcc_lo, v33, v6
	v_lshlrev_b64_e32 v[14:15], 2, v[14:15]
	v_dual_mov_b32 v25, v9 :: v_dual_add_nc_u32 v20, 0x318, v8
	s_wait_alu 0xfffd
	v_add_co_ci_u32_e32 v7, vcc_lo, v34, v7, vcc_lo
	v_add_co_u32 v12, vcc_lo, v33, v12
	v_lshlrev_b64_e32 v[16:17], 2, v[16:17]
	v_dual_mov_b32 v29, v9 :: v_dual_add_nc_u32 v24, 0x39c, v8
	s_wait_alu 0xfffd
	v_add_co_ci_u32_e32 v13, vcc_lo, v34, v13, vcc_lo
	ds_load_2addr_b32 v[4:5], v32 offset1:132
	v_add_co_u32 v14, vcc_lo, v33, v14
	v_lshlrev_b64_e32 v[20:21], 2, v[20:21]
	v_dual_mov_b32 v27, v9 :: v_dual_add_nc_u32 v22, 0xc00, v32
	v_add_nc_u32_e32 v26, 0x420, v8
	ds_load_2addr_b32 v[10:11], v10 offset0:8 offset1:140
	s_wait_alu 0xfffd
	v_add_co_ci_u32_e32 v15, vcc_lo, v34, v15, vcc_lo
	v_add_co_u32 v16, vcc_lo, v33, v16
	v_lshlrev_b64_e32 v[24:25], 2, v[24:25]
	v_add_nc_u32_e32 v30, 0x1000, v32
	ds_load_2addr_b32 v[18:19], v18 offset0:16 offset1:148
	v_add_nc_u32_e32 v28, 0x4a4, v8
	s_wait_alu 0xfffd
	v_add_co_ci_u32_e32 v17, vcc_lo, v34, v17, vcc_lo
	ds_load_2addr_b32 v[22:23], v22 offset0:24 offset1:156
	v_add_co_u32 v20, vcc_lo, v33, v20
	v_lshlrev_b64_e32 v[26:27], 2, v[26:27]
	v_add_nc_u32_e32 v8, 0x528, v8
	s_wait_alu 0xfffd
	v_add_co_ci_u32_e32 v21, vcc_lo, v34, v21, vcc_lo
	ds_load_2addr_b32 v[30:31], v30 offset0:32 offset1:164
	v_add_co_u32 v24, vcc_lo, v33, v24
	v_lshlrev_b64_e32 v[28:29], 2, v[28:29]
	ds_load_b32 v32, v32 offset:5280
	s_wait_alu 0xfffd
	v_add_co_ci_u32_e32 v25, vcc_lo, v34, v25, vcc_lo
	v_add_co_u32 v26, vcc_lo, v33, v26
	v_lshlrev_b64_e32 v[8:9], 2, v[8:9]
	s_wait_alu 0xfffd
	v_add_co_ci_u32_e32 v27, vcc_lo, v34, v27, vcc_lo
	v_add_co_u32 v28, vcc_lo, v33, v28
	s_wait_alu 0xfffd
	v_add_co_ci_u32_e32 v29, vcc_lo, v34, v29, vcc_lo
	v_add_co_u32 v8, vcc_lo, v33, v8
	s_wait_alu 0xfffd
	v_add_co_ci_u32_e32 v9, vcc_lo, v34, v9, vcc_lo
	s_wait_dscnt 0x5
	s_clause 0x1
	global_store_b32 v[2:3], v4, off
	global_store_b32 v[0:1], v5, off
	s_wait_dscnt 0x4
	s_clause 0x1
	global_store_b32 v[6:7], v10, off
	global_store_b32 v[12:13], v11, off
	;; [unrolled: 4-line block ×5, first 2 shown]
	s_wait_dscnt 0x0
	global_store_b32 v[8:9], v32, off
.LBB0_29:
	s_nop 0
	s_sendmsg sendmsg(MSG_DEALLOC_VGPRS)
	s_endpgm
	.section	.rodata,"a",@progbits
	.p2align	6, 0x0
	.amdhsa_kernel fft_rtc_back_len1452_factors_11_3_11_4_wgs_132_tpt_132_halfLds_half_ip_CI_unitstride_sbrr_C2R_dirReg
		.amdhsa_group_segment_fixed_size 0
		.amdhsa_private_segment_fixed_size 0
		.amdhsa_kernarg_size 88
		.amdhsa_user_sgpr_count 2
		.amdhsa_user_sgpr_dispatch_ptr 0
		.amdhsa_user_sgpr_queue_ptr 0
		.amdhsa_user_sgpr_kernarg_segment_ptr 1
		.amdhsa_user_sgpr_dispatch_id 0
		.amdhsa_user_sgpr_private_segment_size 0
		.amdhsa_wavefront_size32 1
		.amdhsa_uses_dynamic_stack 0
		.amdhsa_enable_private_segment 0
		.amdhsa_system_sgpr_workgroup_id_x 1
		.amdhsa_system_sgpr_workgroup_id_y 0
		.amdhsa_system_sgpr_workgroup_id_z 0
		.amdhsa_system_sgpr_workgroup_info 0
		.amdhsa_system_vgpr_workitem_id 0
		.amdhsa_next_free_vgpr 131
		.amdhsa_next_free_sgpr 32
		.amdhsa_reserve_vcc 1
		.amdhsa_float_round_mode_32 0
		.amdhsa_float_round_mode_16_64 0
		.amdhsa_float_denorm_mode_32 3
		.amdhsa_float_denorm_mode_16_64 3
		.amdhsa_fp16_overflow 0
		.amdhsa_workgroup_processor_mode 1
		.amdhsa_memory_ordered 1
		.amdhsa_forward_progress 0
		.amdhsa_round_robin_scheduling 0
		.amdhsa_exception_fp_ieee_invalid_op 0
		.amdhsa_exception_fp_denorm_src 0
		.amdhsa_exception_fp_ieee_div_zero 0
		.amdhsa_exception_fp_ieee_overflow 0
		.amdhsa_exception_fp_ieee_underflow 0
		.amdhsa_exception_fp_ieee_inexact 0
		.amdhsa_exception_int_div_zero 0
	.end_amdhsa_kernel
	.text
.Lfunc_end0:
	.size	fft_rtc_back_len1452_factors_11_3_11_4_wgs_132_tpt_132_halfLds_half_ip_CI_unitstride_sbrr_C2R_dirReg, .Lfunc_end0-fft_rtc_back_len1452_factors_11_3_11_4_wgs_132_tpt_132_halfLds_half_ip_CI_unitstride_sbrr_C2R_dirReg
                                        ; -- End function
	.section	.AMDGPU.csdata,"",@progbits
; Kernel info:
; codeLenInByte = 10944
; NumSgprs: 34
; NumVgprs: 131
; ScratchSize: 0
; MemoryBound: 0
; FloatMode: 240
; IeeeMode: 1
; LDSByteSize: 0 bytes/workgroup (compile time only)
; SGPRBlocks: 4
; VGPRBlocks: 16
; NumSGPRsForWavesPerEU: 34
; NumVGPRsForWavesPerEU: 131
; Occupancy: 10
; WaveLimiterHint : 1
; COMPUTE_PGM_RSRC2:SCRATCH_EN: 0
; COMPUTE_PGM_RSRC2:USER_SGPR: 2
; COMPUTE_PGM_RSRC2:TRAP_HANDLER: 0
; COMPUTE_PGM_RSRC2:TGID_X_EN: 1
; COMPUTE_PGM_RSRC2:TGID_Y_EN: 0
; COMPUTE_PGM_RSRC2:TGID_Z_EN: 0
; COMPUTE_PGM_RSRC2:TIDIG_COMP_CNT: 0
	.text
	.p2alignl 7, 3214868480
	.fill 96, 4, 3214868480
	.type	__hip_cuid_2ec120482b3cb96,@object ; @__hip_cuid_2ec120482b3cb96
	.section	.bss,"aw",@nobits
	.globl	__hip_cuid_2ec120482b3cb96
__hip_cuid_2ec120482b3cb96:
	.byte	0                               ; 0x0
	.size	__hip_cuid_2ec120482b3cb96, 1

	.ident	"AMD clang version 19.0.0git (https://github.com/RadeonOpenCompute/llvm-project roc-6.4.0 25133 c7fe45cf4b819c5991fe208aaa96edf142730f1d)"
	.section	".note.GNU-stack","",@progbits
	.addrsig
	.addrsig_sym __hip_cuid_2ec120482b3cb96
	.amdgpu_metadata
---
amdhsa.kernels:
  - .args:
      - .actual_access:  read_only
        .address_space:  global
        .offset:         0
        .size:           8
        .value_kind:     global_buffer
      - .offset:         8
        .size:           8
        .value_kind:     by_value
      - .actual_access:  read_only
        .address_space:  global
        .offset:         16
        .size:           8
        .value_kind:     global_buffer
      - .actual_access:  read_only
        .address_space:  global
        .offset:         24
        .size:           8
        .value_kind:     global_buffer
      - .offset:         32
        .size:           8
        .value_kind:     by_value
      - .actual_access:  read_only
        .address_space:  global
        .offset:         40
        .size:           8
        .value_kind:     global_buffer
      - .actual_access:  read_only
        .address_space:  global
        .offset:         48
        .size:           8
        .value_kind:     global_buffer
      - .offset:         56
        .size:           4
        .value_kind:     by_value
      - .actual_access:  read_only
        .address_space:  global
        .offset:         64
        .size:           8
        .value_kind:     global_buffer
      - .actual_access:  read_only
        .address_space:  global
        .offset:         72
        .size:           8
        .value_kind:     global_buffer
      - .address_space:  global
        .offset:         80
        .size:           8
        .value_kind:     global_buffer
    .group_segment_fixed_size: 0
    .kernarg_segment_align: 8
    .kernarg_segment_size: 88
    .language:       OpenCL C
    .language_version:
      - 2
      - 0
    .max_flat_workgroup_size: 132
    .name:           fft_rtc_back_len1452_factors_11_3_11_4_wgs_132_tpt_132_halfLds_half_ip_CI_unitstride_sbrr_C2R_dirReg
    .private_segment_fixed_size: 0
    .sgpr_count:     34
    .sgpr_spill_count: 0
    .symbol:         fft_rtc_back_len1452_factors_11_3_11_4_wgs_132_tpt_132_halfLds_half_ip_CI_unitstride_sbrr_C2R_dirReg.kd
    .uniform_work_group_size: 1
    .uses_dynamic_stack: false
    .vgpr_count:     131
    .vgpr_spill_count: 0
    .wavefront_size: 32
    .workgroup_processor_mode: 1
amdhsa.target:   amdgcn-amd-amdhsa--gfx1201
amdhsa.version:
  - 1
  - 2
...

	.end_amdgpu_metadata
